;; amdgpu-corpus repo=ROCm/rocFFT kind=compiled arch=gfx906 opt=O3
	.text
	.amdgcn_target "amdgcn-amd-amdhsa--gfx906"
	.amdhsa_code_object_version 6
	.protected	fft_rtc_fwd_len525_factors_7_3_5_5_wgs_105_tpt_105_dp_op_CI_CI_sbrr_dirReg ; -- Begin function fft_rtc_fwd_len525_factors_7_3_5_5_wgs_105_tpt_105_dp_op_CI_CI_sbrr_dirReg
	.globl	fft_rtc_fwd_len525_factors_7_3_5_5_wgs_105_tpt_105_dp_op_CI_CI_sbrr_dirReg
	.p2align	8
	.type	fft_rtc_fwd_len525_factors_7_3_5_5_wgs_105_tpt_105_dp_op_CI_CI_sbrr_dirReg,@function
fft_rtc_fwd_len525_factors_7_3_5_5_wgs_105_tpt_105_dp_op_CI_CI_sbrr_dirReg: ; @fft_rtc_fwd_len525_factors_7_3_5_5_wgs_105_tpt_105_dp_op_CI_CI_sbrr_dirReg
; %bb.0:
	s_load_dwordx4 s[16:19], s[4:5], 0x18
	s_load_dwordx4 s[12:15], s[4:5], 0x0
	;; [unrolled: 1-line block ×3, first 2 shown]
	v_mul_u32_u24_e32 v1, 0x271, v0
	v_add_u32_sdwa v5, s6, v1 dst_sel:DWORD dst_unused:UNUSED_PAD src0_sel:DWORD src1_sel:WORD_1
	s_waitcnt lgkmcnt(0)
	s_load_dwordx2 s[20:21], s[16:17], 0x0
	s_load_dwordx2 s[2:3], s[18:19], 0x0
	v_cmp_lt_u64_e64 s[0:1], s[14:15], 2
	v_mov_b32_e32 v3, 0
	v_mov_b32_e32 v1, 0
	;; [unrolled: 1-line block ×3, first 2 shown]
	s_and_b64 vcc, exec, s[0:1]
	v_mov_b32_e32 v2, 0
	s_cbranch_vccnz .LBB0_8
; %bb.1:
	s_load_dwordx2 s[0:1], s[4:5], 0x10
	s_add_u32 s6, s18, 8
	s_addc_u32 s7, s19, 0
	s_add_u32 s22, s16, 8
	v_mov_b32_e32 v1, 0
	s_addc_u32 s23, s17, 0
	v_mov_b32_e32 v2, 0
	s_waitcnt lgkmcnt(0)
	s_add_u32 s24, s0, 8
	v_mov_b32_e32 v25, v2
	s_addc_u32 s25, s1, 0
	s_mov_b64 s[26:27], 1
	v_mov_b32_e32 v24, v1
.LBB0_2:                                ; =>This Inner Loop Header: Depth=1
	s_load_dwordx2 s[28:29], s[24:25], 0x0
                                        ; implicit-def: $vgpr26_vgpr27
	s_waitcnt lgkmcnt(0)
	v_or_b32_e32 v4, s29, v6
	v_cmp_ne_u64_e32 vcc, 0, v[3:4]
	s_and_saveexec_b64 s[0:1], vcc
	s_xor_b64 s[30:31], exec, s[0:1]
	s_cbranch_execz .LBB0_4
; %bb.3:                                ;   in Loop: Header=BB0_2 Depth=1
	v_cvt_f32_u32_e32 v4, s28
	v_cvt_f32_u32_e32 v7, s29
	s_sub_u32 s0, 0, s28
	s_subb_u32 s1, 0, s29
	v_mac_f32_e32 v4, 0x4f800000, v7
	v_rcp_f32_e32 v4, v4
	v_mul_f32_e32 v4, 0x5f7ffffc, v4
	v_mul_f32_e32 v7, 0x2f800000, v4
	v_trunc_f32_e32 v7, v7
	v_mac_f32_e32 v4, 0xcf800000, v7
	v_cvt_u32_f32_e32 v7, v7
	v_cvt_u32_f32_e32 v4, v4
	v_mul_lo_u32 v8, s0, v7
	v_mul_hi_u32 v9, s0, v4
	v_mul_lo_u32 v11, s1, v4
	v_mul_lo_u32 v10, s0, v4
	v_add_u32_e32 v8, v9, v8
	v_add_u32_e32 v8, v8, v11
	v_mul_hi_u32 v9, v4, v10
	v_mul_lo_u32 v11, v4, v8
	v_mul_hi_u32 v13, v4, v8
	v_mul_hi_u32 v12, v7, v10
	v_mul_lo_u32 v10, v7, v10
	v_mul_hi_u32 v14, v7, v8
	v_add_co_u32_e32 v9, vcc, v9, v11
	v_addc_co_u32_e32 v11, vcc, 0, v13, vcc
	v_mul_lo_u32 v8, v7, v8
	v_add_co_u32_e32 v9, vcc, v9, v10
	v_addc_co_u32_e32 v9, vcc, v11, v12, vcc
	v_addc_co_u32_e32 v10, vcc, 0, v14, vcc
	v_add_co_u32_e32 v8, vcc, v9, v8
	v_addc_co_u32_e32 v9, vcc, 0, v10, vcc
	v_add_co_u32_e32 v4, vcc, v4, v8
	v_addc_co_u32_e32 v7, vcc, v7, v9, vcc
	v_mul_lo_u32 v8, s0, v7
	v_mul_hi_u32 v9, s0, v4
	v_mul_lo_u32 v10, s1, v4
	v_mul_lo_u32 v11, s0, v4
	v_add_u32_e32 v8, v9, v8
	v_add_u32_e32 v8, v8, v10
	v_mul_lo_u32 v12, v4, v8
	v_mul_hi_u32 v13, v4, v11
	v_mul_hi_u32 v14, v4, v8
	;; [unrolled: 1-line block ×3, first 2 shown]
	v_mul_lo_u32 v11, v7, v11
	v_mul_hi_u32 v9, v7, v8
	v_add_co_u32_e32 v12, vcc, v13, v12
	v_addc_co_u32_e32 v13, vcc, 0, v14, vcc
	v_mul_lo_u32 v8, v7, v8
	v_add_co_u32_e32 v11, vcc, v12, v11
	v_addc_co_u32_e32 v10, vcc, v13, v10, vcc
	v_addc_co_u32_e32 v9, vcc, 0, v9, vcc
	v_add_co_u32_e32 v8, vcc, v10, v8
	v_addc_co_u32_e32 v9, vcc, 0, v9, vcc
	v_add_co_u32_e32 v4, vcc, v4, v8
	v_addc_co_u32_e32 v9, vcc, v7, v9, vcc
	v_mad_u64_u32 v[7:8], s[0:1], v5, v9, 0
	v_mul_hi_u32 v10, v5, v4
	v_add_co_u32_e32 v11, vcc, v10, v7
	v_addc_co_u32_e32 v12, vcc, 0, v8, vcc
	v_mad_u64_u32 v[7:8], s[0:1], v6, v4, 0
	v_mad_u64_u32 v[9:10], s[0:1], v6, v9, 0
	v_add_co_u32_e32 v4, vcc, v11, v7
	v_addc_co_u32_e32 v4, vcc, v12, v8, vcc
	v_addc_co_u32_e32 v7, vcc, 0, v10, vcc
	v_add_co_u32_e32 v4, vcc, v4, v9
	v_addc_co_u32_e32 v9, vcc, 0, v7, vcc
	v_mul_lo_u32 v10, s29, v4
	v_mul_lo_u32 v11, s28, v9
	v_mad_u64_u32 v[7:8], s[0:1], s28, v4, 0
	v_add3_u32 v8, v8, v11, v10
	v_sub_u32_e32 v10, v6, v8
	v_mov_b32_e32 v11, s29
	v_sub_co_u32_e32 v7, vcc, v5, v7
	v_subb_co_u32_e64 v10, s[0:1], v10, v11, vcc
	v_subrev_co_u32_e64 v11, s[0:1], s28, v7
	v_subbrev_co_u32_e64 v10, s[0:1], 0, v10, s[0:1]
	v_cmp_le_u32_e64 s[0:1], s29, v10
	v_cndmask_b32_e64 v12, 0, -1, s[0:1]
	v_cmp_le_u32_e64 s[0:1], s28, v11
	v_cndmask_b32_e64 v11, 0, -1, s[0:1]
	v_cmp_eq_u32_e64 s[0:1], s29, v10
	v_cndmask_b32_e64 v10, v12, v11, s[0:1]
	v_add_co_u32_e64 v11, s[0:1], 2, v4
	v_addc_co_u32_e64 v12, s[0:1], 0, v9, s[0:1]
	v_add_co_u32_e64 v13, s[0:1], 1, v4
	v_addc_co_u32_e64 v14, s[0:1], 0, v9, s[0:1]
	v_subb_co_u32_e32 v8, vcc, v6, v8, vcc
	v_cmp_ne_u32_e64 s[0:1], 0, v10
	v_cmp_le_u32_e32 vcc, s29, v8
	v_cndmask_b32_e64 v10, v14, v12, s[0:1]
	v_cndmask_b32_e64 v12, 0, -1, vcc
	v_cmp_le_u32_e32 vcc, s28, v7
	v_cndmask_b32_e64 v7, 0, -1, vcc
	v_cmp_eq_u32_e32 vcc, s29, v8
	v_cndmask_b32_e32 v7, v12, v7, vcc
	v_cmp_ne_u32_e32 vcc, 0, v7
	v_cndmask_b32_e64 v7, v13, v11, s[0:1]
	v_cndmask_b32_e32 v27, v9, v10, vcc
	v_cndmask_b32_e32 v26, v4, v7, vcc
.LBB0_4:                                ;   in Loop: Header=BB0_2 Depth=1
	s_andn2_saveexec_b64 s[0:1], s[30:31]
	s_cbranch_execz .LBB0_6
; %bb.5:                                ;   in Loop: Header=BB0_2 Depth=1
	v_cvt_f32_u32_e32 v4, s28
	s_sub_i32 s30, 0, s28
	v_mov_b32_e32 v27, v3
	v_rcp_iflag_f32_e32 v4, v4
	v_mul_f32_e32 v4, 0x4f7ffffe, v4
	v_cvt_u32_f32_e32 v4, v4
	v_mul_lo_u32 v7, s30, v4
	v_mul_hi_u32 v7, v4, v7
	v_add_u32_e32 v4, v4, v7
	v_mul_hi_u32 v4, v5, v4
	v_mul_lo_u32 v7, v4, s28
	v_add_u32_e32 v8, 1, v4
	v_sub_u32_e32 v7, v5, v7
	v_subrev_u32_e32 v9, s28, v7
	v_cmp_le_u32_e32 vcc, s28, v7
	v_cndmask_b32_e32 v7, v7, v9, vcc
	v_cndmask_b32_e32 v4, v4, v8, vcc
	v_add_u32_e32 v8, 1, v4
	v_cmp_le_u32_e32 vcc, s28, v7
	v_cndmask_b32_e32 v26, v4, v8, vcc
.LBB0_6:                                ;   in Loop: Header=BB0_2 Depth=1
	s_or_b64 exec, exec, s[0:1]
	v_mul_lo_u32 v4, v27, s28
	v_mul_lo_u32 v9, v26, s29
	v_mad_u64_u32 v[7:8], s[0:1], v26, s28, 0
	s_load_dwordx2 s[0:1], s[22:23], 0x0
	s_load_dwordx2 s[28:29], s[6:7], 0x0
	v_add3_u32 v4, v8, v9, v4
	v_sub_co_u32_e32 v5, vcc, v5, v7
	v_subb_co_u32_e32 v4, vcc, v6, v4, vcc
	s_waitcnt lgkmcnt(0)
	v_mul_lo_u32 v6, s0, v4
	v_mul_lo_u32 v7, s1, v5
	v_mad_u64_u32 v[1:2], s[0:1], s0, v5, v[1:2]
	v_mul_lo_u32 v4, s28, v4
	v_mul_lo_u32 v8, s29, v5
	v_mad_u64_u32 v[24:25], s[0:1], s28, v5, v[24:25]
	s_add_u32 s26, s26, 1
	s_addc_u32 s27, s27, 0
	s_add_u32 s6, s6, 8
	v_add3_u32 v25, v8, v25, v4
	s_addc_u32 s7, s7, 0
	v_mov_b32_e32 v4, s14
	s_add_u32 s22, s22, 8
	v_mov_b32_e32 v5, s15
	s_addc_u32 s23, s23, 0
	v_cmp_ge_u64_e32 vcc, s[26:27], v[4:5]
	s_add_u32 s24, s24, 8
	v_add3_u32 v2, v7, v2, v6
	s_addc_u32 s25, s25, 0
	s_cbranch_vccnz .LBB0_9
; %bb.7:                                ;   in Loop: Header=BB0_2 Depth=1
	v_mov_b32_e32 v5, v26
	v_mov_b32_e32 v6, v27
	s_branch .LBB0_2
.LBB0_8:
	v_mov_b32_e32 v25, v2
	v_mov_b32_e32 v27, v6
	;; [unrolled: 1-line block ×4, first 2 shown]
.LBB0_9:
	s_load_dwordx2 s[0:1], s[4:5], 0x28
	s_lshl_b64 s[14:15], s[14:15], 3
	s_add_u32 s4, s18, s14
	s_addc_u32 s5, s19, s15
                                        ; implicit-def: $vgpr52
	s_waitcnt lgkmcnt(0)
	v_cmp_gt_u64_e32 vcc, s[0:1], v[26:27]
	v_cmp_le_u64_e64 s[0:1], s[0:1], v[26:27]
	s_and_saveexec_b64 s[6:7], s[0:1]
	s_xor_b64 s[0:1], exec, s[6:7]
; %bb.10:
	s_mov_b32 s6, 0x2702703
	v_mul_hi_u32 v1, v0, s6
	v_mul_u32_u24_e32 v1, 0x69, v1
	v_sub_u32_e32 v52, v0, v1
                                        ; implicit-def: $vgpr0
                                        ; implicit-def: $vgpr1_vgpr2
; %bb.11:
	s_andn2_saveexec_b64 s[6:7], s[0:1]
	s_cbranch_execz .LBB0_13
; %bb.12:
	s_add_u32 s0, s16, s14
	s_mov_b32 s14, 0x2702703
	v_mul_hi_u32 v3, v0, s14
	s_addc_u32 s1, s17, s15
	s_load_dwordx2 s[0:1], s[0:1], 0x0
	v_mul_u32_u24_e32 v3, 0x69, v3
	v_sub_u32_e32 v52, v0, v3
	v_mad_u64_u32 v[3:4], s[14:15], s20, v52, 0
	s_waitcnt lgkmcnt(0)
	v_mul_lo_u32 v9, s1, v26
	v_mul_lo_u32 v10, s0, v27
	v_mad_u64_u32 v[5:6], s[0:1], s0, v26, 0
	v_mov_b32_e32 v0, v4
	v_mad_u64_u32 v[7:8], s[0:1], s21, v52, v[0:1]
	v_add3_u32 v6, v6, v10, v9
	v_lshlrev_b64 v[5:6], 4, v[5:6]
	v_mov_b32_e32 v4, v7
	v_mov_b32_e32 v0, s9
	v_add_co_u32_e64 v7, s[0:1], s8, v5
	v_add_u32_e32 v9, 0x69, v52
	v_addc_co_u32_e64 v8, s[0:1], v0, v6, s[0:1]
	v_mad_u64_u32 v[5:6], s[0:1], s20, v9, 0
	v_lshlrev_b64 v[0:1], 4, v[1:2]
	v_add_u32_e32 v17, 0x13b, v52
	v_add_co_u32_e64 v28, s[0:1], v7, v0
	v_mov_b32_e32 v2, v6
	v_addc_co_u32_e64 v29, s[0:1], v8, v1, s[0:1]
	v_lshlrev_b64 v[0:1], 4, v[3:4]
	v_mad_u64_u32 v[2:3], s[0:1], s21, v9, v[2:3]
	v_add_co_u32_e64 v8, s[0:1], v28, v0
	v_mov_b32_e32 v6, v2
	v_add_u32_e32 v2, 0xd2, v52
	v_addc_co_u32_e64 v9, s[0:1], v29, v1, s[0:1]
	v_mad_u64_u32 v[10:11], s[0:1], s20, v2, 0
	v_lshlrev_b64 v[0:1], 4, v[5:6]
	v_add_co_u32_e64 v12, s[0:1], v28, v0
	v_mov_b32_e32 v0, v11
	v_addc_co_u32_e64 v13, s[0:1], v29, v1, s[0:1]
	v_mad_u64_u32 v[14:15], s[0:1], s21, v2, v[0:1]
	v_mad_u64_u32 v[15:16], s[0:1], s20, v17, 0
	v_mov_b32_e32 v11, v14
	global_load_dwordx4 v[0:3], v[8:9], off
	global_load_dwordx4 v[4:7], v[12:13], off
	v_lshlrev_b64 v[8:9], 4, v[10:11]
	v_mov_b32_e32 v10, v16
	v_mad_u64_u32 v[10:11], s[0:1], s21, v17, v[10:11]
	v_add_u32_e32 v11, 0x1a4, v52
	v_mad_u64_u32 v[17:18], s[0:1], s20, v11, 0
	v_add_co_u32_e64 v19, s[0:1], v28, v8
	v_mov_b32_e32 v16, v10
	v_mov_b32_e32 v10, v18
	v_addc_co_u32_e64 v20, s[0:1], v29, v9, s[0:1]
	v_mad_u64_u32 v[21:22], s[0:1], s21, v11, v[10:11]
	v_lshlrev_b64 v[8:9], 4, v[15:16]
	v_add_co_u32_e64 v22, s[0:1], v28, v8
	v_mov_b32_e32 v18, v21
	v_addc_co_u32_e64 v23, s[0:1], v29, v9, s[0:1]
	global_load_dwordx4 v[8:11], v[19:20], off
	global_load_dwordx4 v[12:15], v[22:23], off
	v_lshlrev_b64 v[16:17], 4, v[17:18]
	v_lshl_add_u32 v20, v52, 4, 0
	v_add_co_u32_e64 v16, s[0:1], v28, v16
	v_addc_co_u32_e64 v17, s[0:1], v29, v17, s[0:1]
	global_load_dwordx4 v[16:19], v[16:17], off
	s_waitcnt vmcnt(4)
	ds_write_b128 v20, v[0:3]
	s_waitcnt vmcnt(3)
	ds_write_b128 v20, v[4:7] offset:1680
	s_waitcnt vmcnt(2)
	ds_write_b128 v20, v[8:11] offset:3360
	;; [unrolled: 2-line block ×4, first 2 shown]
.LBB0_13:
	s_or_b64 exec, exec, s[6:7]
	v_lshl_add_u32 v53, v52, 4, 0
	s_waitcnt lgkmcnt(0)
	s_barrier
	ds_read_b128 v[0:3], v53 offset:1200
	ds_read_b128 v[4:7], v53 offset:7200
	;; [unrolled: 1-line block ×5, first 2 shown]
	ds_read_b128 v[20:23], v53
	s_waitcnt lgkmcnt(4)
	v_add_f64 v[38:39], v[2:3], v[6:7]
	ds_read_b128 v[28:31], v53 offset:4800
	s_waitcnt lgkmcnt(3)
	v_add_f64 v[34:35], v[14:15], v[10:11]
	v_add_f64 v[36:37], v[0:1], v[4:5]
	;; [unrolled: 1-line block ×3, first 2 shown]
	v_add_f64 v[8:9], v[12:13], -v[8:9]
	s_waitcnt lgkmcnt(0)
	v_add_f64 v[42:43], v[18:19], v[30:31]
	v_add_f64 v[40:41], v[16:17], v[28:29]
	v_add_f64 v[10:11], v[14:15], -v[10:11]
	v_add_f64 v[48:49], v[28:29], -v[16:17]
	v_add_f64 v[46:47], v[34:35], v[38:39]
	v_add_f64 v[50:51], v[30:31], -v[18:19]
	v_add_f64 v[44:45], v[32:33], v[36:37]
	v_add_f64 v[0:1], v[0:1], -v[4:5]
	v_add_f64 v[2:3], v[2:3], -v[6:7]
	;; [unrolled: 1-line block ×5, first 2 shown]
	v_add_f64 v[46:47], v[42:43], v[46:47]
	v_add_f64 v[32:33], v[50:51], -v[10:11]
	v_add_f64 v[44:45], v[40:41], v[44:45]
	s_mov_b32 s0, 0x36b3c0b5
	s_mov_b32 s1, 0x3fac98ee
	v_add_f64 v[16:17], v[48:49], v[8:9]
	v_add_f64 v[18:19], v[50:51], v[10:11]
	v_add_f64 v[54:55], v[34:35], -v[38:39]
	v_add_f64 v[14:15], v[22:23], v[46:47]
	v_add_f64 v[22:23], v[42:43], -v[34:35]
	;; [unrolled: 2-line block ×3, first 2 shown]
	v_add_f64 v[10:11], v[10:11], -v[2:3]
	v_mul_f64 v[20:21], v[6:7], s[0:1]
	v_add_f64 v[6:7], v[36:37], -v[40:41]
	v_add_f64 v[38:39], v[38:39], -v[42:43]
	s_mov_b32 s8, 0xaaaaaaaa
	v_mul_f64 v[22:23], v[22:23], s[0:1]
	s_mov_b32 s0, 0xe976ee23
	s_mov_b32 s1, 0xbfe11646
	v_mul_f64 v[30:31], v[28:29], s[0:1]
	v_mul_f64 v[28:29], v[32:33], s[0:1]
	s_mov_b32 s0, 0x429ad128
	s_mov_b32 s14, 0x37e14327
	;; [unrolled: 1-line block ×5, first 2 shown]
	v_add_f64 v[16:17], v[16:17], v[0:1]
	v_add_f64 v[18:19], v[18:19], v[2:3]
	v_fma_f64 v[34:35], v[46:47], s[8:9], v[14:15]
	v_add_f64 v[46:47], v[0:1], -v[48:49]
	v_mul_f64 v[36:37], v[6:7], s[14:15]
	v_mul_f64 v[42:43], v[38:39], s[14:15]
	v_add_f64 v[50:51], v[2:3], -v[50:51]
	v_mul_f64 v[0:1], v[10:11], s[0:1]
	v_mul_f64 v[2:3], v[8:9], s[0:1]
	v_fma_f64 v[32:33], v[44:45], s[8:9], v[12:13]
	s_mov_b32 s9, 0x3fe77f67
	s_mov_b32 s8, 0x5476071b
	v_fma_f64 v[40:41], v[4:5], s[8:9], -v[20:21]
	v_fma_f64 v[44:45], v[54:55], s[8:9], -v[22:23]
	s_mov_b32 s14, 0xb247c609
	s_mov_b32 s9, 0xbfe77f67
	s_mov_b32 s15, 0xbfd5d0dc
	v_fma_f64 v[56:57], v[10:11], s[0:1], -v[28:29]
	v_fma_f64 v[6:7], v[8:9], s[0:1], -v[30:31]
	;; [unrolled: 1-line block ×6, first 2 shown]
	s_mov_b32 s6, 0x37c3f68c
	s_mov_b32 s7, 0x3fdc38aa
	v_add_f64 v[10:11], v[40:41], v[32:33]
	v_add_f64 v[54:55], v[44:45], v[34:35]
	v_fma_f64 v[56:57], v[18:19], s[6:7], v[56:57]
	v_fma_f64 v[6:7], v[16:17], s[6:7], v[6:7]
	v_add_f64 v[38:39], v[4:5], v[32:33]
	v_add_f64 v[44:45], v[8:9], v[34:35]
	v_fma_f64 v[40:41], v[18:19], s[6:7], v[0:1]
	v_fma_f64 v[48:49], v[16:17], s[6:7], v[2:3]
	s_movk_i32 s0, 0x4b
	v_cmp_gt_u32_e64 s[0:1], s0, v52
	v_add_f64 v[0:1], v[10:11], -v[56:57]
	v_add_f64 v[2:3], v[6:7], v[54:55]
	v_add_f64 v[4:5], v[10:11], v[56:57]
	v_add_f64 v[6:7], v[54:55], -v[6:7]
	v_add_f64 v[8:9], v[38:39], -v[40:41]
	v_add_f64 v[10:11], v[48:49], v[44:45]
	s_barrier
	s_and_saveexec_b64 s[8:9], s[0:1]
	s_cbranch_execz .LBB0_15
; %bb.14:
	s_mov_b32 s15, 0x3fd5d0dc
	v_mul_f64 v[46:47], v[46:47], s[14:15]
	v_mul_f64 v[50:51], v[50:51], s[14:15]
	v_mul_f64 v[16:17], v[16:17], s[6:7]
	v_mul_f64 v[18:19], v[18:19], s[6:7]
	v_add_f64 v[22:23], v[22:23], v[42:43]
	v_add_f64 v[20:21], v[20:21], v[36:37]
	s_movk_i32 s0, 0x60
	v_add_f64 v[30:31], v[30:31], v[46:47]
	v_add_f64 v[28:29], v[28:29], v[50:51]
	v_add_f64 v[34:35], v[22:23], v[34:35]
	v_add_f64 v[20:21], v[20:21], v[32:33]
	v_add_f64 v[30:31], v[16:17], v[30:31]
	v_add_f64 v[32:33], v[18:19], v[28:29]
	v_add_f64 v[18:19], v[44:45], -v[48:49]
	v_add_f64 v[16:17], v[38:39], v[40:41]
	v_add_f64 v[22:23], v[30:31], v[34:35]
	v_add_f64 v[30:31], v[34:35], -v[30:31]
	v_add_f64 v[28:29], v[20:21], v[32:33]
	v_add_f64 v[20:21], v[20:21], -v[32:33]
	v_mad_u32_u24 v32, v52, s0, v53
	ds_write_b128 v32, v[12:15]
	ds_write_b128 v32, v[0:3] offset:48
	ds_write_b128 v32, v[4:7] offset:64
	;; [unrolled: 1-line block ×6, first 2 shown]
.LBB0_15:
	s_or_b64 exec, exec, s[8:9]
	s_waitcnt lgkmcnt(0)
	s_barrier
	ds_read_b128 v[12:15], v53
	ds_read_b128 v[20:23], v53 offset:2800
	ds_read_b128 v[16:19], v53 offset:5600
	s_movk_i32 s0, 0x46
	v_cmp_gt_u32_e64 s[0:1], s0, v52
	s_and_saveexec_b64 s[6:7], s[0:1]
	s_cbranch_execz .LBB0_17
; %bb.16:
	ds_read_b128 v[0:3], v53 offset:1680
	ds_read_b128 v[4:7], v53 offset:4480
	;; [unrolled: 1-line block ×3, first 2 shown]
.LBB0_17:
	s_or_b64 exec, exec, s[6:7]
	v_mov_b32_e32 v28, 37
	v_mul_lo_u16_sdwa v29, v52, v28 dst_sel:DWORD dst_unused:UNUSED_PAD src0_sel:BYTE_0 src1_sel:DWORD
	v_sub_u16_sdwa v30, v52, v29 dst_sel:DWORD dst_unused:UNUSED_PAD src0_sel:DWORD src1_sel:BYTE_1
	v_lshrrev_b16_e32 v30, 1, v30
	v_and_b32_e32 v30, 0x7f, v30
	v_add_u16_sdwa v29, v30, v29 dst_sel:DWORD dst_unused:UNUSED_PAD src0_sel:DWORD src1_sel:BYTE_1
	v_lshrrev_b16_e32 v42, 2, v29
	v_mul_lo_u16_e32 v29, 7, v42
	v_sub_u16_e32 v43, v52, v29
	v_mov_b32_e32 v29, 5
	v_lshlrev_b32_sdwa v38, v29, v43 dst_sel:DWORD dst_unused:UNUSED_PAD src0_sel:DWORD src1_sel:BYTE_0
	global_load_dwordx4 v[30:33], v38, s[12:13]
	global_load_dwordx4 v[34:37], v38, s[12:13] offset:16
	s_mov_b32 s6, 0xe8584caa
	s_mov_b32 s7, 0x3febb67a
	;; [unrolled: 1-line block ×4, first 2 shown]
	s_load_dwordx2 s[4:5], s[4:5], 0x0
	s_waitcnt vmcnt(0) lgkmcnt(0)
	s_barrier
	v_mul_f64 v[38:39], v[22:23], v[32:33]
	v_mul_f64 v[32:33], v[20:21], v[32:33]
	;; [unrolled: 1-line block ×4, first 2 shown]
	v_fma_f64 v[20:21], v[20:21], v[30:31], -v[38:39]
	v_fma_f64 v[22:23], v[22:23], v[30:31], v[32:33]
	v_fma_f64 v[16:17], v[16:17], v[34:35], -v[40:41]
	v_fma_f64 v[18:19], v[18:19], v[34:35], v[36:37]
	v_add_f64 v[34:35], v[12:13], v[20:21]
	v_add_f64 v[30:31], v[20:21], v[16:17]
	;; [unrolled: 1-line block ×3, first 2 shown]
	v_add_f64 v[36:37], v[22:23], -v[18:19]
	v_add_f64 v[22:23], v[14:15], v[22:23]
	v_add_f64 v[38:39], v[20:21], -v[16:17]
	v_mul_u32_u24_e32 v21, 0x150, v42
	v_fma_f64 v[30:31], v[30:31], -0.5, v[12:13]
	v_fma_f64 v[32:33], v[32:33], -0.5, v[14:15]
	v_add_f64 v[13:14], v[34:35], v[16:17]
	v_add_f64 v[15:16], v[22:23], v[18:19]
	v_mov_b32_e32 v12, 4
	v_lshlrev_b32_sdwa v22, v12, v43 dst_sel:DWORD dst_unused:UNUSED_PAD src0_sel:DWORD src1_sel:BYTE_0
	v_add3_u32 v21, 0, v21, v22
	v_fma_f64 v[17:18], v[36:37], s[6:7], v[30:31]
	v_fma_f64 v[19:20], v[38:39], s[8:9], v[32:33]
	;; [unrolled: 1-line block ×4, first 2 shown]
	ds_write_b128 v21, v[13:16]
	ds_write_b128 v21, v[17:20] offset:112
	ds_write_b128 v21, v[30:33] offset:224
	s_and_saveexec_b64 s[14:15], s[0:1]
	s_cbranch_execz .LBB0_19
; %bb.18:
	v_add_u16_e32 v13, 0x69, v52
	v_mul_lo_u16_sdwa v14, v13, v28 dst_sel:DWORD dst_unused:UNUSED_PAD src0_sel:BYTE_0 src1_sel:DWORD
	v_sub_u16_sdwa v15, v13, v14 dst_sel:DWORD dst_unused:UNUSED_PAD src0_sel:DWORD src1_sel:BYTE_1
	v_lshrrev_b16_e32 v15, 1, v15
	v_and_b32_e32 v15, 0x7f, v15
	v_add_u16_sdwa v14, v15, v14 dst_sel:DWORD dst_unused:UNUSED_PAD src0_sel:DWORD src1_sel:BYTE_1
	v_lshrrev_b16_e32 v23, 2, v14
	v_mul_lo_u16_e32 v14, 7, v23
	v_sub_u16_e32 v30, v13, v14
	v_lshlrev_b32_sdwa v21, v29, v30 dst_sel:DWORD dst_unused:UNUSED_PAD src0_sel:DWORD src1_sel:BYTE_0
	global_load_dwordx4 v[13:16], v21, s[12:13]
	global_load_dwordx4 v[17:20], v21, s[12:13] offset:16
	s_waitcnt vmcnt(1)
	v_mul_f64 v[21:22], v[4:5], v[15:16]
	s_waitcnt vmcnt(0)
	v_mul_f64 v[28:29], v[8:9], v[19:20]
	v_mul_f64 v[15:16], v[6:7], v[15:16]
	;; [unrolled: 1-line block ×3, first 2 shown]
	v_fma_f64 v[6:7], v[6:7], v[13:14], v[21:22]
	v_fma_f64 v[10:11], v[10:11], v[17:18], v[28:29]
	v_fma_f64 v[4:5], v[4:5], v[13:14], -v[15:16]
	v_fma_f64 v[8:9], v[8:9], v[17:18], -v[19:20]
	v_add_f64 v[19:20], v[2:3], v[6:7]
	v_add_f64 v[13:14], v[6:7], v[10:11]
	v_add_f64 v[21:22], v[6:7], -v[10:11]
	v_add_f64 v[15:16], v[4:5], v[8:9]
	v_add_f64 v[17:18], v[4:5], -v[8:9]
	v_add_f64 v[4:5], v[0:1], v[4:5]
	v_fma_f64 v[13:14], v[13:14], -0.5, v[2:3]
	v_add_f64 v[2:3], v[19:20], v[10:11]
	v_fma_f64 v[15:16], v[15:16], -0.5, v[0:1]
	v_add_f64 v[0:1], v[4:5], v[8:9]
	v_fma_f64 v[10:11], v[17:18], s[8:9], v[13:14]
	v_fma_f64 v[6:7], v[17:18], s[6:7], v[13:14]
	;; [unrolled: 1-line block ×4, first 2 shown]
	v_mul_u32_u24_e32 v13, 0x150, v23
	v_lshlrev_b32_sdwa v14, v12, v30 dst_sel:DWORD dst_unused:UNUSED_PAD src0_sel:DWORD src1_sel:BYTE_0
	v_add3_u32 v13, 0, v13, v14
	ds_write_b128 v13, v[0:3]
	ds_write_b128 v13, v[8:11] offset:112
	ds_write_b128 v13, v[4:7] offset:224
.LBB0_19:
	s_or_b64 exec, exec, s[14:15]
	s_movk_i32 s0, 0x87
	v_mul_lo_u16_sdwa v0, v52, s0 dst_sel:DWORD dst_unused:UNUSED_PAD src0_sel:BYTE_0 src1_sel:DWORD
	v_sub_u16_sdwa v1, v52, v0 dst_sel:DWORD dst_unused:UNUSED_PAD src0_sel:DWORD src1_sel:BYTE_1
	v_lshrrev_b16_e32 v1, 1, v1
	v_and_b32_e32 v1, 0x7f, v1
	v_add_u16_sdwa v0, v1, v0 dst_sel:DWORD dst_unused:UNUSED_PAD src0_sel:DWORD src1_sel:BYTE_1
	v_lshrrev_b16_e32 v0, 4, v0
	v_and_b32_e32 v23, 15, v0
	v_mul_lo_u16_e32 v0, 21, v23
	v_sub_u16_e32 v54, v52, v0
	v_mov_b32_e32 v0, 6
	v_lshlrev_b32_sdwa v17, v0, v54 dst_sel:DWORD dst_unused:UNUSED_PAD src0_sel:DWORD src1_sel:BYTE_0
	s_waitcnt lgkmcnt(0)
	s_barrier
	global_load_dwordx4 v[0:3], v17, s[12:13] offset:224
	global_load_dwordx4 v[4:7], v17, s[12:13] offset:240
	;; [unrolled: 1-line block ×4, first 2 shown]
	ds_read_b128 v[17:20], v53
	ds_read_b128 v[28:31], v53 offset:1680
	ds_read_b128 v[32:35], v53 offset:3360
	;; [unrolled: 1-line block ×4, first 2 shown]
	v_lshlrev_b32_e32 v21, 2, v52
	v_mov_b32_e32 v22, 0
	v_lshlrev_b64 v[21:22], 4, v[21:22]
	v_mov_b32_e32 v44, s13
	v_add_co_u32_e64 v21, s[0:1], s12, v21
	v_addc_co_u32_e64 v22, s[0:1], v44, v22, s[0:1]
	v_lshlrev_b32_sdwa v62, v12, v54 dst_sel:DWORD dst_unused:UNUSED_PAD src0_sel:DWORD src1_sel:BYTE_0
	s_mov_b32 s14, 0x134454ff
	s_mov_b32 s15, 0x3fee6f0e
	;; [unrolled: 1-line block ×10, first 2 shown]
	s_movk_i32 s20, 0x690
	v_mul_u32_u24_sdwa v23, v23, s20 dst_sel:DWORD dst_unused:UNUSED_PAD src0_sel:WORD_0 src1_sel:DWORD
	s_waitcnt vmcnt(0) lgkmcnt(0)
	s_barrier
	v_mul_f64 v[44:45], v[30:31], v[2:3]
	v_mul_f64 v[2:3], v[28:29], v[2:3]
	;; [unrolled: 1-line block ×8, first 2 shown]
	v_fma_f64 v[28:29], v[28:29], v[0:1], -v[44:45]
	v_fma_f64 v[0:1], v[30:31], v[0:1], v[2:3]
	v_fma_f64 v[2:3], v[32:33], v[4:5], -v[46:47]
	v_fma_f64 v[4:5], v[34:35], v[4:5], v[6:7]
	;; [unrolled: 2-line block ×3, first 2 shown]
	v_fma_f64 v[8:9], v[38:39], v[8:9], v[10:11]
	v_fma_f64 v[10:11], v[40:41], v[13:14], -v[15:16]
	v_add_f64 v[12:13], v[17:18], v[28:29]
	v_add_f64 v[46:47], v[19:20], v[0:1]
	v_add_f64 v[36:37], v[28:29], -v[2:3]
	v_add_f64 v[42:43], v[2:3], -v[28:29]
	v_add_f64 v[14:15], v[2:3], v[6:7]
	v_add_f64 v[58:59], v[0:1], v[30:31]
	;; [unrolled: 1-line block ×3, first 2 shown]
	v_add_f64 v[38:39], v[10:11], -v[6:7]
	v_add_f64 v[40:41], v[28:29], v[10:11]
	v_add_f64 v[32:33], v[0:1], -v[30:31]
	v_add_f64 v[34:35], v[4:5], -v[8:9]
	;; [unrolled: 1-line block ×8, first 2 shown]
	v_add_f64 v[2:3], v[12:13], v[2:3]
	v_fma_f64 v[12:13], v[14:15], -0.5, v[17:18]
	v_add_f64 v[14:15], v[36:37], v[38:39]
	v_add_f64 v[4:5], v[46:47], v[4:5]
	v_fma_f64 v[38:39], v[48:49], -0.5, v[19:20]
	v_fma_f64 v[16:17], v[40:41], -0.5, v[17:18]
	;; [unrolled: 1-line block ×3, first 2 shown]
	v_add_f64 v[56:57], v[30:31], -v[8:9]
	v_add_f64 v[36:37], v[42:43], v[44:45]
	v_add_f64 v[42:43], v[0:1], v[60:61]
	v_add_f64 v[0:1], v[2:3], v[6:7]
	v_fma_f64 v[2:3], v[32:33], s[14:15], v[12:13]
	v_fma_f64 v[6:7], v[32:33], s[18:19], v[12:13]
	v_add_f64 v[4:5], v[4:5], v[8:9]
	v_fma_f64 v[8:9], v[28:29], s[18:19], v[38:39]
	v_fma_f64 v[12:13], v[34:35], s[18:19], v[16:17]
	;; [unrolled: 1-line block ×6, first 2 shown]
	v_add_f64 v[40:41], v[54:55], v[56:57]
	v_add_f64 v[0:1], v[0:1], v[10:11]
	v_fma_f64 v[10:11], v[34:35], s[6:7], v[2:3]
	v_fma_f64 v[6:7], v[34:35], s[16:17], v[6:7]
	v_add_f64 v[2:3], v[4:5], v[30:31]
	v_fma_f64 v[30:31], v[50:51], s[16:17], v[8:9]
	v_fma_f64 v[12:13], v[32:33], s[6:7], v[12:13]
	v_fma_f64 v[16:17], v[32:33], s[16:17], v[16:17]
	v_fma_f64 v[32:33], v[28:29], s[16:17], v[44:45]
	v_fma_f64 v[18:19], v[28:29], s[6:7], v[18:19]
	v_fma_f64 v[28:29], v[50:51], s[6:7], v[38:39]
	v_fma_f64 v[4:5], v[14:15], s[8:9], v[10:11]
	v_fma_f64 v[8:9], v[14:15], s[8:9], v[6:7]
	v_fma_f64 v[6:7], v[40:41], s[8:9], v[30:31]
	v_fma_f64 v[12:13], v[36:37], s[8:9], v[12:13]
	v_fma_f64 v[16:17], v[36:37], s[8:9], v[16:17]
	v_fma_f64 v[14:15], v[42:43], s[8:9], v[32:33]
	v_fma_f64 v[18:19], v[42:43], s[8:9], v[18:19]
	v_fma_f64 v[10:11], v[40:41], s[8:9], v[28:29]
	v_add3_u32 v20, 0, v23, v62
	ds_write_b128 v20, v[0:3]
	ds_write_b128 v20, v[4:7] offset:336
	ds_write_b128 v20, v[12:15] offset:672
	;; [unrolled: 1-line block ×4, first 2 shown]
	s_waitcnt lgkmcnt(0)
	s_barrier
	global_load_dwordx4 v[0:3], v[21:22], off offset:1568
	global_load_dwordx4 v[4:7], v[21:22], off offset:1584
	;; [unrolled: 1-line block ×4, first 2 shown]
	ds_read_b128 v[16:19], v53 offset:1680
	ds_read_b128 v[20:23], v53
	ds_read_b128 v[28:31], v53 offset:3360
	ds_read_b128 v[32:35], v53 offset:5040
	;; [unrolled: 1-line block ×3, first 2 shown]
	s_waitcnt vmcnt(0) lgkmcnt(0)
	s_barrier
	v_mul_f64 v[40:41], v[18:19], v[2:3]
	v_mul_f64 v[2:3], v[16:17], v[2:3]
	;; [unrolled: 1-line block ×8, first 2 shown]
	v_fma_f64 v[16:17], v[16:17], v[0:1], -v[40:41]
	v_fma_f64 v[0:1], v[18:19], v[0:1], v[2:3]
	v_fma_f64 v[2:3], v[28:29], v[4:5], -v[42:43]
	v_fma_f64 v[4:5], v[30:31], v[4:5], v[6:7]
	;; [unrolled: 2-line block ×3, first 2 shown]
	v_fma_f64 v[8:9], v[34:35], v[8:9], v[10:11]
	v_fma_f64 v[10:11], v[36:37], v[12:13], -v[14:15]
	v_add_f64 v[12:13], v[20:21], v[16:17]
	v_add_f64 v[42:43], v[22:23], v[0:1]
	v_add_f64 v[32:33], v[16:17], -v[2:3]
	v_add_f64 v[38:39], v[2:3], -v[16:17]
	v_add_f64 v[14:15], v[2:3], v[6:7]
	v_add_f64 v[54:55], v[0:1], v[18:19]
	;; [unrolled: 1-line block ×3, first 2 shown]
	v_add_f64 v[34:35], v[10:11], -v[6:7]
	v_add_f64 v[36:37], v[16:17], v[10:11]
	v_add_f64 v[28:29], v[0:1], -v[18:19]
	v_add_f64 v[30:31], v[4:5], -v[8:9]
	;; [unrolled: 1-line block ×8, first 2 shown]
	v_add_f64 v[2:3], v[12:13], v[2:3]
	v_fma_f64 v[12:13], v[14:15], -0.5, v[20:21]
	v_add_f64 v[14:15], v[32:33], v[34:35]
	v_add_f64 v[4:5], v[42:43], v[4:5]
	v_fma_f64 v[34:35], v[44:45], -0.5, v[22:23]
	v_fma_f64 v[20:21], v[36:37], -0.5, v[20:21]
	;; [unrolled: 1-line block ×3, first 2 shown]
	v_add_f64 v[50:51], v[18:19], -v[8:9]
	v_add_f64 v[32:33], v[38:39], v[40:41]
	v_add_f64 v[38:39], v[0:1], v[56:57]
	;; [unrolled: 1-line block ×3, first 2 shown]
	v_fma_f64 v[2:3], v[28:29], s[14:15], v[12:13]
	v_fma_f64 v[6:7], v[28:29], s[18:19], v[12:13]
	v_add_f64 v[4:5], v[4:5], v[8:9]
	v_fma_f64 v[8:9], v[16:17], s[18:19], v[34:35]
	v_fma_f64 v[12:13], v[30:31], s[18:19], v[20:21]
	;; [unrolled: 1-line block ×6, first 2 shown]
	v_add_f64 v[36:37], v[48:49], v[50:51]
	v_add_f64 v[0:1], v[0:1], v[10:11]
	v_fma_f64 v[10:11], v[30:31], s[6:7], v[2:3]
	v_fma_f64 v[6:7], v[30:31], s[16:17], v[6:7]
	v_add_f64 v[2:3], v[4:5], v[18:19]
	v_fma_f64 v[18:19], v[46:47], s[16:17], v[8:9]
	v_fma_f64 v[12:13], v[28:29], s[6:7], v[12:13]
	;; [unrolled: 1-line block ×14, first 2 shown]
	ds_write_b128 v53, v[0:3]
	ds_write_b128 v53, v[4:7] offset:1680
	ds_write_b128 v53, v[12:15] offset:3360
	;; [unrolled: 1-line block ×4, first 2 shown]
	s_waitcnt lgkmcnt(0)
	s_barrier
	s_and_saveexec_b64 s[0:1], vcc
	s_cbranch_execz .LBB0_21
; %bb.20:
	v_mad_u64_u32 v[0:1], s[0:1], s2, v52, 0
	v_mad_u64_u32 v[2:3], s[0:1], s4, v26, 0
	v_mul_lo_u32 v6, s5, v26
	v_mul_lo_u32 v7, s4, v27
	v_mad_u64_u32 v[4:5], s[0:1], s3, v52, v[1:2]
	v_lshl_add_u32 v15, v52, 4, 0
	v_add3_u32 v3, v3, v7, v6
	v_lshlrev_b64 v[2:3], 4, v[2:3]
	v_mov_b32_e32 v1, v4
	v_mov_b32_e32 v4, s11
	v_add_co_u32_e32 v5, vcc, s10, v2
	v_addc_co_u32_e32 v4, vcc, v4, v3, vcc
	v_lshlrev_b64 v[2:3], 4, v[24:25]
	v_lshlrev_b64 v[0:1], 4, v[0:1]
	v_add_co_u32_e32 v16, vcc, v5, v2
	v_add_u32_e32 v2, 0x69, v52
	v_mad_u64_u32 v[8:9], s[0:1], s2, v2, 0
	v_addc_co_u32_e32 v17, vcc, v4, v3, vcc
	v_add_co_u32_e32 v10, vcc, v16, v0
	v_mov_b32_e32 v0, v9
	v_mad_u64_u32 v[12:13], s[0:1], s3, v2, v[0:1]
	v_add_u32_e32 v18, 0xd2, v52
	v_addc_co_u32_e32 v11, vcc, v17, v1, vcc
	ds_read_b128 v[0:3], v15
	ds_read_b128 v[4:7], v15 offset:1680
	v_mad_u64_u32 v[13:14], s[0:1], s2, v18, 0
	v_mov_b32_e32 v9, v12
	s_waitcnt lgkmcnt(1)
	global_store_dwordx4 v[10:11], v[0:3], off
	s_nop 0
	v_mov_b32_e32 v2, v14
	v_mad_u64_u32 v[2:3], s[0:1], s3, v18, v[2:3]
	v_lshlrev_b64 v[0:1], 4, v[8:9]
	v_add_u32_e32 v18, 0x1a4, v52
	v_mov_b32_e32 v14, v2
	v_add_u32_e32 v2, 0x13b, v52
	v_add_co_u32_e32 v0, vcc, v16, v0
	v_mad_u64_u32 v[8:9], s[0:1], s2, v2, 0
	v_addc_co_u32_e32 v1, vcc, v17, v1, vcc
	s_waitcnt lgkmcnt(0)
	global_store_dwordx4 v[0:1], v[4:7], off
	v_lshlrev_b64 v[0:1], 4, v[13:14]
	v_add_co_u32_e32 v10, vcc, v16, v0
	v_mov_b32_e32 v0, v9
	v_mad_u64_u32 v[12:13], s[0:1], s3, v2, v[0:1]
	v_addc_co_u32_e32 v11, vcc, v17, v1, vcc
	ds_read_b128 v[0:3], v15 offset:3360
	ds_read_b128 v[4:7], v15 offset:5040
	v_mad_u64_u32 v[13:14], s[0:1], s2, v18, 0
	v_mov_b32_e32 v9, v12
	s_waitcnt lgkmcnt(1)
	global_store_dwordx4 v[10:11], v[0:3], off
	s_nop 0
	v_mov_b32_e32 v2, v14
	v_lshlrev_b64 v[0:1], 4, v[8:9]
	v_mad_u64_u32 v[2:3], s[0:1], s3, v18, v[2:3]
	v_add_co_u32_e32 v0, vcc, v16, v0
	v_addc_co_u32_e32 v1, vcc, v17, v1, vcc
	s_waitcnt lgkmcnt(0)
	global_store_dwordx4 v[0:1], v[4:7], off
	v_mov_b32_e32 v14, v2
	ds_read_b128 v[0:3], v15 offset:6720
	v_lshlrev_b64 v[4:5], 4, v[13:14]
	v_add_co_u32_e32 v4, vcc, v16, v4
	v_addc_co_u32_e32 v5, vcc, v17, v5, vcc
	s_waitcnt lgkmcnt(0)
	global_store_dwordx4 v[4:5], v[0:3], off
.LBB0_21:
	s_endpgm
	.section	.rodata,"a",@progbits
	.p2align	6, 0x0
	.amdhsa_kernel fft_rtc_fwd_len525_factors_7_3_5_5_wgs_105_tpt_105_dp_op_CI_CI_sbrr_dirReg
		.amdhsa_group_segment_fixed_size 0
		.amdhsa_private_segment_fixed_size 0
		.amdhsa_kernarg_size 104
		.amdhsa_user_sgpr_count 6
		.amdhsa_user_sgpr_private_segment_buffer 1
		.amdhsa_user_sgpr_dispatch_ptr 0
		.amdhsa_user_sgpr_queue_ptr 0
		.amdhsa_user_sgpr_kernarg_segment_ptr 1
		.amdhsa_user_sgpr_dispatch_id 0
		.amdhsa_user_sgpr_flat_scratch_init 0
		.amdhsa_user_sgpr_private_segment_size 0
		.amdhsa_uses_dynamic_stack 0
		.amdhsa_system_sgpr_private_segment_wavefront_offset 0
		.amdhsa_system_sgpr_workgroup_id_x 1
		.amdhsa_system_sgpr_workgroup_id_y 0
		.amdhsa_system_sgpr_workgroup_id_z 0
		.amdhsa_system_sgpr_workgroup_info 0
		.amdhsa_system_vgpr_workitem_id 0
		.amdhsa_next_free_vgpr 63
		.amdhsa_next_free_sgpr 32
		.amdhsa_reserve_vcc 1
		.amdhsa_reserve_flat_scratch 0
		.amdhsa_float_round_mode_32 0
		.amdhsa_float_round_mode_16_64 0
		.amdhsa_float_denorm_mode_32 3
		.amdhsa_float_denorm_mode_16_64 3
		.amdhsa_dx10_clamp 1
		.amdhsa_ieee_mode 1
		.amdhsa_fp16_overflow 0
		.amdhsa_exception_fp_ieee_invalid_op 0
		.amdhsa_exception_fp_denorm_src 0
		.amdhsa_exception_fp_ieee_div_zero 0
		.amdhsa_exception_fp_ieee_overflow 0
		.amdhsa_exception_fp_ieee_underflow 0
		.amdhsa_exception_fp_ieee_inexact 0
		.amdhsa_exception_int_div_zero 0
	.end_amdhsa_kernel
	.text
.Lfunc_end0:
	.size	fft_rtc_fwd_len525_factors_7_3_5_5_wgs_105_tpt_105_dp_op_CI_CI_sbrr_dirReg, .Lfunc_end0-fft_rtc_fwd_len525_factors_7_3_5_5_wgs_105_tpt_105_dp_op_CI_CI_sbrr_dirReg
                                        ; -- End function
	.section	.AMDGPU.csdata,"",@progbits
; Kernel info:
; codeLenInByte = 5492
; NumSgprs: 36
; NumVgprs: 63
; ScratchSize: 0
; MemoryBound: 0
; FloatMode: 240
; IeeeMode: 1
; LDSByteSize: 0 bytes/workgroup (compile time only)
; SGPRBlocks: 4
; VGPRBlocks: 15
; NumSGPRsForWavesPerEU: 36
; NumVGPRsForWavesPerEU: 63
; Occupancy: 4
; WaveLimiterHint : 1
; COMPUTE_PGM_RSRC2:SCRATCH_EN: 0
; COMPUTE_PGM_RSRC2:USER_SGPR: 6
; COMPUTE_PGM_RSRC2:TRAP_HANDLER: 0
; COMPUTE_PGM_RSRC2:TGID_X_EN: 1
; COMPUTE_PGM_RSRC2:TGID_Y_EN: 0
; COMPUTE_PGM_RSRC2:TGID_Z_EN: 0
; COMPUTE_PGM_RSRC2:TIDIG_COMP_CNT: 0
	.type	__hip_cuid_2a23b5f47f026aa1,@object ; @__hip_cuid_2a23b5f47f026aa1
	.section	.bss,"aw",@nobits
	.globl	__hip_cuid_2a23b5f47f026aa1
__hip_cuid_2a23b5f47f026aa1:
	.byte	0                               ; 0x0
	.size	__hip_cuid_2a23b5f47f026aa1, 1

	.ident	"AMD clang version 19.0.0git (https://github.com/RadeonOpenCompute/llvm-project roc-6.4.0 25133 c7fe45cf4b819c5991fe208aaa96edf142730f1d)"
	.section	".note.GNU-stack","",@progbits
	.addrsig
	.addrsig_sym __hip_cuid_2a23b5f47f026aa1
	.amdgpu_metadata
---
amdhsa.kernels:
  - .args:
      - .actual_access:  read_only
        .address_space:  global
        .offset:         0
        .size:           8
        .value_kind:     global_buffer
      - .offset:         8
        .size:           8
        .value_kind:     by_value
      - .actual_access:  read_only
        .address_space:  global
        .offset:         16
        .size:           8
        .value_kind:     global_buffer
      - .actual_access:  read_only
        .address_space:  global
        .offset:         24
        .size:           8
        .value_kind:     global_buffer
      - .actual_access:  read_only
        .address_space:  global
        .offset:         32
        .size:           8
        .value_kind:     global_buffer
      - .offset:         40
        .size:           8
        .value_kind:     by_value
      - .actual_access:  read_only
        .address_space:  global
        .offset:         48
        .size:           8
        .value_kind:     global_buffer
      - .actual_access:  read_only
        .address_space:  global
        .offset:         56
        .size:           8
        .value_kind:     global_buffer
      - .offset:         64
        .size:           4
        .value_kind:     by_value
      - .actual_access:  read_only
        .address_space:  global
        .offset:         72
        .size:           8
        .value_kind:     global_buffer
      - .actual_access:  read_only
        .address_space:  global
        .offset:         80
        .size:           8
        .value_kind:     global_buffer
      - .actual_access:  read_only
        .address_space:  global
        .offset:         88
        .size:           8
        .value_kind:     global_buffer
      - .actual_access:  write_only
        .address_space:  global
        .offset:         96
        .size:           8
        .value_kind:     global_buffer
    .group_segment_fixed_size: 0
    .kernarg_segment_align: 8
    .kernarg_segment_size: 104
    .language:       OpenCL C
    .language_version:
      - 2
      - 0
    .max_flat_workgroup_size: 105
    .name:           fft_rtc_fwd_len525_factors_7_3_5_5_wgs_105_tpt_105_dp_op_CI_CI_sbrr_dirReg
    .private_segment_fixed_size: 0
    .sgpr_count:     36
    .sgpr_spill_count: 0
    .symbol:         fft_rtc_fwd_len525_factors_7_3_5_5_wgs_105_tpt_105_dp_op_CI_CI_sbrr_dirReg.kd
    .uniform_work_group_size: 1
    .uses_dynamic_stack: false
    .vgpr_count:     63
    .vgpr_spill_count: 0
    .wavefront_size: 64
amdhsa.target:   amdgcn-amd-amdhsa--gfx906
amdhsa.version:
  - 1
  - 2
...

	.end_amdgpu_metadata
